;; amdgpu-corpus repo=ROCm/rocFFT kind=compiled arch=gfx1201 opt=O3
	.text
	.amdgcn_target "amdgcn-amd-amdhsa--gfx1201"
	.amdhsa_code_object_version 6
	.protected	fft_rtc_fwd_len1540_factors_11_2_7_5_2_wgs_154_tpt_154_halfLds_dp_ip_CI_unitstride_sbrr_C2R_dirReg ; -- Begin function fft_rtc_fwd_len1540_factors_11_2_7_5_2_wgs_154_tpt_154_halfLds_dp_ip_CI_unitstride_sbrr_C2R_dirReg
	.globl	fft_rtc_fwd_len1540_factors_11_2_7_5_2_wgs_154_tpt_154_halfLds_dp_ip_CI_unitstride_sbrr_C2R_dirReg
	.p2align	8
	.type	fft_rtc_fwd_len1540_factors_11_2_7_5_2_wgs_154_tpt_154_halfLds_dp_ip_CI_unitstride_sbrr_C2R_dirReg,@function
fft_rtc_fwd_len1540_factors_11_2_7_5_2_wgs_154_tpt_154_halfLds_dp_ip_CI_unitstride_sbrr_C2R_dirReg: ; @fft_rtc_fwd_len1540_factors_11_2_7_5_2_wgs_154_tpt_154_halfLds_dp_ip_CI_unitstride_sbrr_C2R_dirReg
; %bb.0:
	s_clause 0x2
	s_load_b128 s[4:7], s[0:1], 0x0
	s_load_b64 s[8:9], s[0:1], 0x50
	s_load_b64 s[10:11], s[0:1], 0x18
	v_mul_u32_u24_e32 v1, 0x1aa, v0
	v_mov_b32_e32 v3, 0
	s_delay_alu instid0(VALU_DEP_2) | instskip(NEXT) | instid1(VALU_DEP_1)
	v_lshrrev_b32_e32 v1, 16, v1
	v_add_nc_u32_e32 v5, ttmp9, v1
	v_mov_b32_e32 v1, 0
	v_mov_b32_e32 v2, 0
	;; [unrolled: 1-line block ×3, first 2 shown]
	s_wait_kmcnt 0x0
	v_cmp_lt_u64_e64 s2, s[6:7], 2
	s_delay_alu instid0(VALU_DEP_1)
	s_and_b32 vcc_lo, exec_lo, s2
	s_cbranch_vccnz .LBB0_8
; %bb.1:
	s_load_b64 s[2:3], s[0:1], 0x10
	v_mov_b32_e32 v1, 0
	v_mov_b32_e32 v2, 0
	s_add_nc_u64 s[12:13], s[10:11], 8
	s_mov_b64 s[14:15], 1
	s_wait_kmcnt 0x0
	s_add_nc_u64 s[16:17], s[2:3], 8
	s_mov_b32 s3, 0
.LBB0_2:                                ; =>This Inner Loop Header: Depth=1
	s_load_b64 s[18:19], s[16:17], 0x0
                                        ; implicit-def: $vgpr7_vgpr8
	s_mov_b32 s2, exec_lo
	s_wait_kmcnt 0x0
	v_or_b32_e32 v4, s19, v6
	s_delay_alu instid0(VALU_DEP_1)
	v_cmpx_ne_u64_e32 0, v[3:4]
	s_wait_alu 0xfffe
	s_xor_b32 s20, exec_lo, s2
	s_cbranch_execz .LBB0_4
; %bb.3:                                ;   in Loop: Header=BB0_2 Depth=1
	s_cvt_f32_u32 s2, s18
	s_cvt_f32_u32 s21, s19
	s_sub_nc_u64 s[24:25], 0, s[18:19]
	s_wait_alu 0xfffe
	s_delay_alu instid0(SALU_CYCLE_1) | instskip(SKIP_1) | instid1(SALU_CYCLE_2)
	s_fmamk_f32 s2, s21, 0x4f800000, s2
	s_wait_alu 0xfffe
	v_s_rcp_f32 s2, s2
	s_delay_alu instid0(TRANS32_DEP_1) | instskip(SKIP_1) | instid1(SALU_CYCLE_2)
	s_mul_f32 s2, s2, 0x5f7ffffc
	s_wait_alu 0xfffe
	s_mul_f32 s21, s2, 0x2f800000
	s_wait_alu 0xfffe
	s_delay_alu instid0(SALU_CYCLE_2) | instskip(SKIP_1) | instid1(SALU_CYCLE_2)
	s_trunc_f32 s21, s21
	s_wait_alu 0xfffe
	s_fmamk_f32 s2, s21, 0xcf800000, s2
	s_cvt_u32_f32 s23, s21
	s_wait_alu 0xfffe
	s_delay_alu instid0(SALU_CYCLE_1) | instskip(SKIP_1) | instid1(SALU_CYCLE_2)
	s_cvt_u32_f32 s22, s2
	s_wait_alu 0xfffe
	s_mul_u64 s[26:27], s[24:25], s[22:23]
	s_wait_alu 0xfffe
	s_mul_hi_u32 s29, s22, s27
	s_mul_i32 s28, s22, s27
	s_mul_hi_u32 s2, s22, s26
	s_mul_i32 s30, s23, s26
	s_wait_alu 0xfffe
	s_add_nc_u64 s[28:29], s[2:3], s[28:29]
	s_mul_hi_u32 s21, s23, s26
	s_mul_hi_u32 s31, s23, s27
	s_add_co_u32 s2, s28, s30
	s_wait_alu 0xfffe
	s_add_co_ci_u32 s2, s29, s21
	s_mul_i32 s26, s23, s27
	s_add_co_ci_u32 s27, s31, 0
	s_wait_alu 0xfffe
	s_add_nc_u64 s[26:27], s[2:3], s[26:27]
	s_wait_alu 0xfffe
	v_add_co_u32 v4, s2, s22, s26
	s_delay_alu instid0(VALU_DEP_1) | instskip(SKIP_1) | instid1(VALU_DEP_1)
	s_cmp_lg_u32 s2, 0
	s_add_co_ci_u32 s23, s23, s27
	v_readfirstlane_b32 s22, v4
	s_wait_alu 0xfffe
	s_delay_alu instid0(VALU_DEP_1)
	s_mul_u64 s[24:25], s[24:25], s[22:23]
	s_wait_alu 0xfffe
	s_mul_hi_u32 s27, s22, s25
	s_mul_i32 s26, s22, s25
	s_mul_hi_u32 s2, s22, s24
	s_mul_i32 s28, s23, s24
	s_wait_alu 0xfffe
	s_add_nc_u64 s[26:27], s[2:3], s[26:27]
	s_mul_hi_u32 s21, s23, s24
	s_mul_hi_u32 s22, s23, s25
	s_wait_alu 0xfffe
	s_add_co_u32 s2, s26, s28
	s_add_co_ci_u32 s2, s27, s21
	s_mul_i32 s24, s23, s25
	s_add_co_ci_u32 s25, s22, 0
	s_wait_alu 0xfffe
	s_add_nc_u64 s[24:25], s[2:3], s[24:25]
	s_wait_alu 0xfffe
	v_add_co_u32 v4, s2, v4, s24
	s_delay_alu instid0(VALU_DEP_1) | instskip(SKIP_1) | instid1(VALU_DEP_1)
	s_cmp_lg_u32 s2, 0
	s_add_co_ci_u32 s2, s23, s25
	v_mul_hi_u32 v13, v5, v4
	s_wait_alu 0xfffe
	v_mad_co_u64_u32 v[7:8], null, v5, s2, 0
	v_mad_co_u64_u32 v[9:10], null, v6, v4, 0
	;; [unrolled: 1-line block ×3, first 2 shown]
	s_delay_alu instid0(VALU_DEP_3) | instskip(SKIP_1) | instid1(VALU_DEP_4)
	v_add_co_u32 v4, vcc_lo, v13, v7
	s_wait_alu 0xfffd
	v_add_co_ci_u32_e32 v7, vcc_lo, 0, v8, vcc_lo
	s_delay_alu instid0(VALU_DEP_2) | instskip(SKIP_1) | instid1(VALU_DEP_2)
	v_add_co_u32 v4, vcc_lo, v4, v9
	s_wait_alu 0xfffd
	v_add_co_ci_u32_e32 v4, vcc_lo, v7, v10, vcc_lo
	s_wait_alu 0xfffd
	v_add_co_ci_u32_e32 v7, vcc_lo, 0, v12, vcc_lo
	s_delay_alu instid0(VALU_DEP_2) | instskip(SKIP_1) | instid1(VALU_DEP_2)
	v_add_co_u32 v4, vcc_lo, v4, v11
	s_wait_alu 0xfffd
	v_add_co_ci_u32_e32 v9, vcc_lo, 0, v7, vcc_lo
	s_delay_alu instid0(VALU_DEP_2) | instskip(SKIP_1) | instid1(VALU_DEP_3)
	v_mul_lo_u32 v10, s19, v4
	v_mad_co_u64_u32 v[7:8], null, s18, v4, 0
	v_mul_lo_u32 v11, s18, v9
	s_delay_alu instid0(VALU_DEP_2) | instskip(NEXT) | instid1(VALU_DEP_2)
	v_sub_co_u32 v7, vcc_lo, v5, v7
	v_add3_u32 v8, v8, v11, v10
	s_delay_alu instid0(VALU_DEP_1) | instskip(SKIP_1) | instid1(VALU_DEP_1)
	v_sub_nc_u32_e32 v10, v6, v8
	s_wait_alu 0xfffd
	v_subrev_co_ci_u32_e64 v10, s2, s19, v10, vcc_lo
	v_add_co_u32 v11, s2, v4, 2
	s_wait_alu 0xf1ff
	v_add_co_ci_u32_e64 v12, s2, 0, v9, s2
	v_sub_co_u32 v13, s2, v7, s18
	v_sub_co_ci_u32_e32 v8, vcc_lo, v6, v8, vcc_lo
	s_wait_alu 0xf1ff
	v_subrev_co_ci_u32_e64 v10, s2, 0, v10, s2
	s_delay_alu instid0(VALU_DEP_3) | instskip(NEXT) | instid1(VALU_DEP_3)
	v_cmp_le_u32_e32 vcc_lo, s18, v13
	v_cmp_eq_u32_e64 s2, s19, v8
	s_wait_alu 0xfffd
	v_cndmask_b32_e64 v13, 0, -1, vcc_lo
	v_cmp_le_u32_e32 vcc_lo, s19, v10
	s_wait_alu 0xfffd
	v_cndmask_b32_e64 v14, 0, -1, vcc_lo
	v_cmp_le_u32_e32 vcc_lo, s18, v7
	;; [unrolled: 3-line block ×3, first 2 shown]
	s_wait_alu 0xfffd
	v_cndmask_b32_e64 v15, 0, -1, vcc_lo
	v_cmp_eq_u32_e32 vcc_lo, s19, v10
	s_wait_alu 0xf1ff
	s_delay_alu instid0(VALU_DEP_2)
	v_cndmask_b32_e64 v7, v15, v7, s2
	s_wait_alu 0xfffd
	v_cndmask_b32_e32 v10, v14, v13, vcc_lo
	v_add_co_u32 v13, vcc_lo, v4, 1
	s_wait_alu 0xfffd
	v_add_co_ci_u32_e32 v14, vcc_lo, 0, v9, vcc_lo
	s_delay_alu instid0(VALU_DEP_3) | instskip(SKIP_2) | instid1(VALU_DEP_3)
	v_cmp_ne_u32_e32 vcc_lo, 0, v10
	s_wait_alu 0xfffd
	v_cndmask_b32_e32 v10, v13, v11, vcc_lo
	v_cndmask_b32_e32 v8, v14, v12, vcc_lo
	v_cmp_ne_u32_e32 vcc_lo, 0, v7
	s_wait_alu 0xfffd
	s_delay_alu instid0(VALU_DEP_2)
	v_dual_cndmask_b32 v7, v4, v10 :: v_dual_cndmask_b32 v8, v9, v8
.LBB0_4:                                ;   in Loop: Header=BB0_2 Depth=1
	s_wait_alu 0xfffe
	s_and_not1_saveexec_b32 s2, s20
	s_cbranch_execz .LBB0_6
; %bb.5:                                ;   in Loop: Header=BB0_2 Depth=1
	v_cvt_f32_u32_e32 v4, s18
	s_sub_co_i32 s20, 0, s18
	s_delay_alu instid0(VALU_DEP_1) | instskip(NEXT) | instid1(TRANS32_DEP_1)
	v_rcp_iflag_f32_e32 v4, v4
	v_mul_f32_e32 v4, 0x4f7ffffe, v4
	s_delay_alu instid0(VALU_DEP_1) | instskip(SKIP_1) | instid1(VALU_DEP_1)
	v_cvt_u32_f32_e32 v4, v4
	s_wait_alu 0xfffe
	v_mul_lo_u32 v7, s20, v4
	s_delay_alu instid0(VALU_DEP_1) | instskip(NEXT) | instid1(VALU_DEP_1)
	v_mul_hi_u32 v7, v4, v7
	v_add_nc_u32_e32 v4, v4, v7
	s_delay_alu instid0(VALU_DEP_1) | instskip(NEXT) | instid1(VALU_DEP_1)
	v_mul_hi_u32 v4, v5, v4
	v_mul_lo_u32 v7, v4, s18
	v_add_nc_u32_e32 v8, 1, v4
	s_delay_alu instid0(VALU_DEP_2) | instskip(NEXT) | instid1(VALU_DEP_1)
	v_sub_nc_u32_e32 v7, v5, v7
	v_subrev_nc_u32_e32 v9, s18, v7
	v_cmp_le_u32_e32 vcc_lo, s18, v7
	s_wait_alu 0xfffd
	s_delay_alu instid0(VALU_DEP_2) | instskip(NEXT) | instid1(VALU_DEP_1)
	v_dual_cndmask_b32 v7, v7, v9 :: v_dual_cndmask_b32 v4, v4, v8
	v_cmp_le_u32_e32 vcc_lo, s18, v7
	s_delay_alu instid0(VALU_DEP_2) | instskip(SKIP_1) | instid1(VALU_DEP_1)
	v_add_nc_u32_e32 v8, 1, v4
	s_wait_alu 0xfffd
	v_dual_cndmask_b32 v7, v4, v8 :: v_dual_mov_b32 v8, v3
.LBB0_6:                                ;   in Loop: Header=BB0_2 Depth=1
	s_wait_alu 0xfffe
	s_or_b32 exec_lo, exec_lo, s2
	s_load_b64 s[20:21], s[12:13], 0x0
	s_delay_alu instid0(VALU_DEP_1)
	v_mul_lo_u32 v4, v8, s18
	v_mul_lo_u32 v11, v7, s19
	v_mad_co_u64_u32 v[9:10], null, v7, s18, 0
	s_add_nc_u64 s[14:15], s[14:15], 1
	s_add_nc_u64 s[12:13], s[12:13], 8
	s_wait_alu 0xfffe
	v_cmp_ge_u64_e64 s2, s[14:15], s[6:7]
	s_add_nc_u64 s[16:17], s[16:17], 8
	s_delay_alu instid0(VALU_DEP_2) | instskip(NEXT) | instid1(VALU_DEP_3)
	v_add3_u32 v4, v10, v11, v4
	v_sub_co_u32 v5, vcc_lo, v5, v9
	s_wait_alu 0xfffd
	s_delay_alu instid0(VALU_DEP_2) | instskip(SKIP_3) | instid1(VALU_DEP_2)
	v_sub_co_ci_u32_e32 v4, vcc_lo, v6, v4, vcc_lo
	s_and_b32 vcc_lo, exec_lo, s2
	s_wait_kmcnt 0x0
	v_mul_lo_u32 v6, s21, v5
	v_mul_lo_u32 v4, s20, v4
	v_mad_co_u64_u32 v[1:2], null, s20, v5, v[1:2]
	s_delay_alu instid0(VALU_DEP_1)
	v_add3_u32 v2, v6, v2, v4
	s_wait_alu 0xfffe
	s_cbranch_vccnz .LBB0_9
; %bb.7:                                ;   in Loop: Header=BB0_2 Depth=1
	v_dual_mov_b32 v5, v7 :: v_dual_mov_b32 v6, v8
	s_branch .LBB0_2
.LBB0_8:
	v_dual_mov_b32 v8, v6 :: v_dual_mov_b32 v7, v5
.LBB0_9:
	s_lshl_b64 s[2:3], s[6:7], 3
	v_mul_hi_u32 v3, 0x1a98ef7, v0
	s_wait_alu 0xfffe
	s_add_nc_u64 s[2:3], s[10:11], s[2:3]
	s_load_b64 s[2:3], s[2:3], 0x0
	s_load_b64 s[0:1], s[0:1], 0x20
	s_delay_alu instid0(VALU_DEP_1)
	v_mul_u32_u24_e32 v3, 0x9a, v3
	s_wait_kmcnt 0x0
	v_mul_lo_u32 v4, s2, v8
	v_mul_lo_u32 v5, s3, v7
	v_mad_co_u64_u32 v[1:2], null, s2, v7, v[1:2]
	v_cmp_gt_u64_e32 vcc_lo, s[0:1], v[7:8]
	s_delay_alu instid0(VALU_DEP_2) | instskip(SKIP_2) | instid1(VALU_DEP_3)
	v_add3_u32 v2, v5, v2, v4
	v_sub_nc_u32_e32 v4, v0, v3
	v_mov_b32_e32 v5, 0
	v_lshlrev_b64_e32 v[58:59], 4, v[1:2]
	s_delay_alu instid0(VALU_DEP_3)
	v_mov_b32_e32 v56, v4
	s_and_saveexec_b32 s1, vcc_lo
	s_cbranch_execz .LBB0_13
; %bb.10:
	v_lshlrev_b64_e32 v[2:3], 4, v[4:5]
	s_delay_alu instid0(VALU_DEP_3) | instskip(SKIP_3) | instid1(VALU_DEP_3)
	v_add_co_u32 v0, s0, s8, v58
	s_wait_alu 0xf1ff
	v_add_co_ci_u32_e64 v1, s0, s9, v59, s0
	v_lshl_add_u32 v46, v4, 4, 0
	v_add_co_u32 v2, s0, v0, v2
	s_wait_alu 0xf1ff
	s_delay_alu instid0(VALU_DEP_3)
	v_add_co_ci_u32_e64 v3, s0, v1, v3, s0
	s_mov_b32 s2, exec_lo
	s_clause 0x9
	global_load_b128 v[6:9], v[2:3], off
	global_load_b128 v[10:13], v[2:3], off offset:2464
	global_load_b128 v[14:17], v[2:3], off offset:4928
	;; [unrolled: 1-line block ×9, first 2 shown]
	v_dual_mov_b32 v2, v4 :: v_dual_mov_b32 v3, v5
	s_wait_loadcnt 0x9
	ds_store_b128 v46, v[6:9]
	s_wait_loadcnt 0x8
	ds_store_b128 v46, v[10:13] offset:2464
	s_wait_loadcnt 0x7
	ds_store_b128 v46, v[14:17] offset:4928
	;; [unrolled: 2-line block ×9, first 2 shown]
	v_cmpx_eq_u32_e32 0x99, v4
	s_cbranch_execz .LBB0_12
; %bb.11:
	global_load_b128 v[5:8], v[0:1], off offset:24640
	v_mov_b32_e32 v2, 0x99
	v_dual_mov_b32 v0, 0 :: v_dual_mov_b32 v3, 0
	v_mov_b32_e32 v4, 0x99
	s_wait_loadcnt 0x0
	ds_store_b128 v0, v[5:8] offset:24640
.LBB0_12:
	s_wait_alu 0xfffe
	s_or_b32 exec_lo, exec_lo, s2
	v_dual_mov_b32 v56, v4 :: v_dual_mov_b32 v5, v3
	v_mov_b32_e32 v4, v2
.LBB0_13:
	s_wait_alu 0xfffe
	s_or_b32 exec_lo, exec_lo, s1
	s_delay_alu instid0(VALU_DEP_1)
	v_lshlrev_b32_e32 v0, 4, v56
	global_wb scope:SCOPE_SE
	s_wait_dscnt 0x0
	s_barrier_signal -1
	s_barrier_wait -1
	global_inv scope:SCOPE_SE
	v_add_nc_u32_e32 v116, 0, v0
	v_sub_nc_u32_e32 v10, 0, v0
	v_lshlrev_b64_e32 v[60:61], 4, v[4:5]
	s_mov_b32 s1, exec_lo
	ds_load_b64 v[6:7], v116
	ds_load_b64 v[8:9], v10 offset:24640
	s_wait_dscnt 0x0
	v_add_f64_e32 v[0:1], v[6:7], v[8:9]
	v_add_f64_e64 v[2:3], v[6:7], -v[8:9]
	v_cmpx_ne_u32_e32 0, v56
	s_wait_alu 0xfffe
	s_xor_b32 s1, exec_lo, s1
	s_cbranch_execz .LBB0_15
; %bb.14:
	v_add_co_u32 v0, s0, s4, v60
	s_wait_alu 0xf1ff
	v_add_co_ci_u32_e64 v1, s0, s5, v61, s0
	v_add_f64_e32 v[13:14], v[6:7], v[8:9]
	v_add_f64_e64 v[8:9], v[6:7], -v[8:9]
	global_load_b128 v[2:5], v[0:1], off offset:24464
	ds_load_b64 v[0:1], v10 offset:24648
	ds_load_b64 v[11:12], v116 offset:8
	s_wait_dscnt 0x0
	v_add_f64_e32 v[6:7], v[0:1], v[11:12]
	v_add_f64_e64 v[0:1], v[11:12], -v[0:1]
	s_wait_loadcnt 0x0
	v_fma_f64 v[11:12], v[8:9], v[4:5], v[13:14]
	v_fma_f64 v[13:14], -v[8:9], v[4:5], v[13:14]
	s_delay_alu instid0(VALU_DEP_3) | instskip(SKIP_1) | instid1(VALU_DEP_4)
	v_fma_f64 v[15:16], v[6:7], v[4:5], -v[0:1]
	v_fma_f64 v[17:18], v[6:7], v[4:5], v[0:1]
	v_fma_f64 v[0:1], -v[6:7], v[2:3], v[11:12]
	s_delay_alu instid0(VALU_DEP_4) | instskip(NEXT) | instid1(VALU_DEP_4)
	v_fma_f64 v[4:5], v[6:7], v[2:3], v[13:14]
	v_fma_f64 v[6:7], v[8:9], v[2:3], v[15:16]
	s_delay_alu instid0(VALU_DEP_4)
	v_fma_f64 v[2:3], v[8:9], v[2:3], v[17:18]
	ds_store_b128 v10, v[4:7] offset:24640
.LBB0_15:
	s_wait_alu 0xfffe
	s_and_not1_saveexec_b32 s0, s1
	s_cbranch_execz .LBB0_17
; %bb.16:
	v_mov_b32_e32 v8, 0
	ds_load_b128 v[4:7], v8 offset:12320
	s_wait_dscnt 0x0
	v_add_f64_e32 v[4:5], v[4:5], v[4:5]
	v_mul_f64_e32 v[6:7], -2.0, v[6:7]
	ds_store_b128 v8, v[4:7] offset:12320
.LBB0_17:
	s_wait_alu 0xfffe
	s_or_b32 exec_lo, exec_lo, s0
	v_mov_b32_e32 v57, 0
	s_add_nc_u64 s[0:1], s[4:5], 0x5f90
	s_mov_b32 s6, 0xf8bb580b
	s_mov_b32 s7, 0xbfe14ced
	;; [unrolled: 1-line block ×3, first 2 shown]
	v_lshlrev_b64_e32 v[62:63], 4, v[56:57]
	s_mov_b32 s10, 0x8eee2c13
	s_mov_b32 s3, 0x3feaeb8c
	;; [unrolled: 1-line block ×5, first 2 shown]
	s_wait_alu 0xfffe
	v_add_co_u32 v23, s0, s0, v62
	s_wait_alu 0xf1ff
	v_add_co_ci_u32_e64 v24, s0, s1, v63, s0
	s_mov_b32 s13, 0x3fda9628
	s_mov_b32 s15, 0xbfefac9e
	;; [unrolled: 1-line block ×3, first 2 shown]
	s_clause 0x1
	global_load_b128 v[4:7], v[23:24], off offset:2464
	global_load_b128 v[11:14], v[23:24], off offset:4928
	ds_store_b128 v116, v[0:3]
	ds_load_b128 v[0:3], v116 offset:2464
	ds_load_b128 v[15:18], v10 offset:22176
	global_load_b128 v[19:22], v[23:24], off offset:7392
	s_mov_b32 s18, 0xbb3a28a1
	s_mov_b32 s17, 0xbfc2375f
	;; [unrolled: 1-line block ×9, first 2 shown]
	s_mov_b32 s33, exec_lo
	s_wait_dscnt 0x0
	v_add_f64_e32 v[8:9], v[0:1], v[15:16]
	v_add_f64_e32 v[25:26], v[17:18], v[2:3]
	v_add_f64_e64 v[15:16], v[0:1], -v[15:16]
	v_add_f64_e64 v[0:1], v[2:3], -v[17:18]
	s_wait_loadcnt 0x2
	s_delay_alu instid0(VALU_DEP_2) | instskip(NEXT) | instid1(VALU_DEP_2)
	v_fma_f64 v[2:3], v[15:16], v[6:7], v[8:9]
	v_fma_f64 v[17:18], v[25:26], v[6:7], v[0:1]
	v_fma_f64 v[8:9], -v[15:16], v[6:7], v[8:9]
	v_fma_f64 v[27:28], v[25:26], v[6:7], -v[0:1]
	s_delay_alu instid0(VALU_DEP_4) | instskip(NEXT) | instid1(VALU_DEP_4)
	v_fma_f64 v[0:1], -v[25:26], v[4:5], v[2:3]
	v_fma_f64 v[2:3], v[15:16], v[4:5], v[17:18]
	s_delay_alu instid0(VALU_DEP_4) | instskip(NEXT) | instid1(VALU_DEP_4)
	v_fma_f64 v[6:7], v[25:26], v[4:5], v[8:9]
	v_fma_f64 v[8:9], v[15:16], v[4:5], v[27:28]
	ds_store_b128 v116, v[0:3] offset:2464
	ds_store_b128 v10, v[6:9] offset:22176
	ds_load_b128 v[0:3], v116 offset:4928
	ds_load_b128 v[4:7], v10 offset:19712
	global_load_b128 v[15:18], v[23:24], off offset:9856
	s_wait_dscnt 0x0
	v_add_f64_e32 v[8:9], v[0:1], v[4:5]
	v_add_f64_e32 v[23:24], v[6:7], v[2:3]
	v_add_f64_e64 v[25:26], v[0:1], -v[4:5]
	v_add_f64_e64 v[0:1], v[2:3], -v[6:7]
	s_wait_loadcnt 0x2
	s_delay_alu instid0(VALU_DEP_2) | instskip(NEXT) | instid1(VALU_DEP_2)
	v_fma_f64 v[2:3], v[25:26], v[13:14], v[8:9]
	v_fma_f64 v[4:5], v[23:24], v[13:14], v[0:1]
	v_fma_f64 v[6:7], -v[25:26], v[13:14], v[8:9]
	v_fma_f64 v[8:9], v[23:24], v[13:14], -v[0:1]
	s_delay_alu instid0(VALU_DEP_4) | instskip(NEXT) | instid1(VALU_DEP_4)
	v_fma_f64 v[0:1], -v[23:24], v[11:12], v[2:3]
	v_fma_f64 v[2:3], v[25:26], v[11:12], v[4:5]
	s_delay_alu instid0(VALU_DEP_4) | instskip(NEXT) | instid1(VALU_DEP_4)
	v_fma_f64 v[4:5], v[23:24], v[11:12], v[6:7]
	v_fma_f64 v[6:7], v[25:26], v[11:12], v[8:9]
	ds_store_b128 v116, v[0:3] offset:4928
	ds_store_b128 v10, v[4:7] offset:19712
	ds_load_b128 v[0:3], v116 offset:7392
	ds_load_b128 v[4:7], v10 offset:17248
	s_wait_dscnt 0x0
	v_add_f64_e32 v[8:9], v[0:1], v[4:5]
	v_add_f64_e32 v[11:12], v[6:7], v[2:3]
	v_add_f64_e64 v[13:14], v[0:1], -v[4:5]
	v_add_f64_e64 v[0:1], v[2:3], -v[6:7]
	s_wait_loadcnt 0x1
	s_delay_alu instid0(VALU_DEP_2) | instskip(NEXT) | instid1(VALU_DEP_2)
	v_fma_f64 v[2:3], v[13:14], v[21:22], v[8:9]
	v_fma_f64 v[4:5], v[11:12], v[21:22], v[0:1]
	v_fma_f64 v[6:7], -v[13:14], v[21:22], v[8:9]
	v_fma_f64 v[8:9], v[11:12], v[21:22], -v[0:1]
	s_delay_alu instid0(VALU_DEP_4) | instskip(NEXT) | instid1(VALU_DEP_4)
	v_fma_f64 v[0:1], -v[11:12], v[19:20], v[2:3]
	v_fma_f64 v[2:3], v[13:14], v[19:20], v[4:5]
	s_delay_alu instid0(VALU_DEP_4) | instskip(NEXT) | instid1(VALU_DEP_4)
	v_fma_f64 v[4:5], v[11:12], v[19:20], v[6:7]
	v_fma_f64 v[6:7], v[13:14], v[19:20], v[8:9]
	ds_store_b128 v116, v[0:3] offset:7392
	ds_store_b128 v10, v[4:7] offset:17248
	ds_load_b128 v[0:3], v116 offset:9856
	ds_load_b128 v[4:7], v10 offset:14784
	s_wait_dscnt 0x0
	v_add_f64_e32 v[8:9], v[0:1], v[4:5]
	v_add_f64_e32 v[11:12], v[6:7], v[2:3]
	v_add_f64_e64 v[13:14], v[0:1], -v[4:5]
	v_add_f64_e64 v[0:1], v[2:3], -v[6:7]
	s_wait_loadcnt 0x0
	s_delay_alu instid0(VALU_DEP_2) | instskip(NEXT) | instid1(VALU_DEP_2)
	v_fma_f64 v[2:3], v[13:14], v[17:18], v[8:9]
	v_fma_f64 v[4:5], v[11:12], v[17:18], v[0:1]
	v_fma_f64 v[6:7], -v[13:14], v[17:18], v[8:9]
	v_fma_f64 v[8:9], v[11:12], v[17:18], -v[0:1]
	s_delay_alu instid0(VALU_DEP_4) | instskip(NEXT) | instid1(VALU_DEP_4)
	v_fma_f64 v[0:1], -v[11:12], v[15:16], v[2:3]
	v_fma_f64 v[2:3], v[13:14], v[15:16], v[4:5]
	s_delay_alu instid0(VALU_DEP_4) | instskip(NEXT) | instid1(VALU_DEP_4)
	v_fma_f64 v[4:5], v[11:12], v[15:16], v[6:7]
	v_fma_f64 v[6:7], v[13:14], v[15:16], v[8:9]
	ds_store_b128 v116, v[0:3] offset:9856
	ds_store_b128 v10, v[4:7] offset:14784
	global_wb scope:SCOPE_SE
	s_wait_dscnt 0x0
	s_barrier_signal -1
	s_barrier_wait -1
	global_inv scope:SCOPE_SE
	global_wb scope:SCOPE_SE
	s_barrier_signal -1
	s_barrier_wait -1
	global_inv scope:SCOPE_SE
	ds_load_b128 v[4:7], v116 offset:22400
	ds_load_b128 v[36:39], v116 offset:2240
	ds_load_b128 v[20:23], v116
	ds_load_b128 v[8:11], v116 offset:20160
	ds_load_b128 v[40:43], v116 offset:4480
	ds_load_b128 v[44:47], v116 offset:6720
	ds_load_b128 v[12:15], v116 offset:17920
	ds_load_b128 v[16:19], v116 offset:15680
	ds_load_b128 v[32:35], v116 offset:8960
	ds_load_b128 v[28:31], v116 offset:11200
	ds_load_b128 v[24:27], v116 offset:13440
	global_wb scope:SCOPE_SE
	s_wait_dscnt 0x0
	s_barrier_signal -1
	s_barrier_wait -1
	global_inv scope:SCOPE_SE
	v_add_f64_e64 v[112:113], v[38:39], -v[6:7]
	v_add_f64_e64 v[90:91], v[36:37], -v[4:5]
	v_add_f64_e32 v[94:95], v[36:37], v[4:5]
	v_add_f64_e32 v[114:115], v[38:39], v[6:7]
	v_add_f64_e64 v[102:103], v[42:43], -v[10:11]
	v_add_f64_e64 v[84:85], v[40:41], -v[8:9]
	v_add_f64_e32 v[74:75], v[40:41], v[8:9]
	v_add_f64_e32 v[108:109], v[42:43], v[10:11]
	;; [unrolled: 4-line block ×4, first 2 shown]
	v_add_f64_e64 v[70:71], v[30:31], -v[26:27]
	v_add_f64_e64 v[50:51], v[28:29], -v[24:25]
	v_add_f64_e32 v[86:87], v[30:31], v[26:27]
	v_mul_f64_e32 v[98:99], s[6:7], v[112:113]
	v_mul_f64_e32 v[100:101], s[6:7], v[90:91]
	;; [unrolled: 1-line block ×4, first 2 shown]
	s_wait_alu 0xfffe
	v_mul_f64_e32 v[104:105], s[14:15], v[80:81]
	v_mul_f64_e32 v[106:107], s[14:15], v[96:97]
	v_mul_f64_e32 v[68:69], s[18:19], v[78:79]
	v_mul_f64_e32 v[72:73], s[18:19], v[66:67]
	v_mul_f64_e32 v[54:55], s[22:23], v[50:51]
	v_fma_f64 v[0:1], v[94:95], s[2:3], v[98:99]
	v_fma_f64 v[2:3], v[114:115], s[2:3], -v[100:101]
	v_fma_f64 v[48:49], v[74:75], s[12:13], v[76:77]
	v_fma_f64 v[52:53], v[108:109], s[12:13], -v[82:83]
	;; [unrolled: 2-line block ×4, first 2 shown]
	v_add_f64_e32 v[0:1], v[20:21], v[0:1]
	v_add_f64_e32 v[2:3], v[22:23], v[2:3]
	s_delay_alu instid0(VALU_DEP_2) | instskip(NEXT) | instid1(VALU_DEP_2)
	v_add_f64_e32 v[0:1], v[48:49], v[0:1]
	v_add_f64_e32 v[2:3], v[52:53], v[2:3]
	;; [unrolled: 1-line block ×3, first 2 shown]
	v_mul_f64_e32 v[52:53], s[22:23], v[70:71]
	s_delay_alu instid0(VALU_DEP_4) | instskip(NEXT) | instid1(VALU_DEP_4)
	v_add_f64_e32 v[0:1], v[117:118], v[0:1]
	v_add_f64_e32 v[2:3], v[119:120], v[2:3]
	v_fma_f64 v[119:120], v[86:87], s[24:25], -v[54:55]
	s_delay_alu instid0(VALU_DEP_4) | instskip(NEXT) | instid1(VALU_DEP_4)
	v_fma_f64 v[117:118], v[48:49], s[24:25], v[52:53]
	v_add_f64_e32 v[0:1], v[121:122], v[0:1]
	s_delay_alu instid0(VALU_DEP_4) | instskip(NEXT) | instid1(VALU_DEP_2)
	v_add_f64_e32 v[2:3], v[123:124], v[2:3]
	v_add_f64_e32 v[0:1], v[117:118], v[0:1]
	s_delay_alu instid0(VALU_DEP_2)
	v_add_f64_e32 v[2:3], v[119:120], v[2:3]
	v_cmpx_gt_u32_e32 0x8c, v56
	s_cbranch_execz .LBB0_19
; %bb.18:
	v_add_f64_e32 v[38:39], v[22:23], v[38:39]
	v_add_f64_e32 v[36:37], v[20:21], v[36:37]
	v_mul_f64_e32 v[117:118], s[16:17], v[114:115]
	v_mul_f64_e32 v[119:120], s[14:15], v[112:113]
	;; [unrolled: 1-line block ×4, first 2 shown]
	s_mov_b32 s27, 0x3fefac9e
	s_mov_b32 s26, s14
	;; [unrolled: 1-line block ×10, first 2 shown]
	v_mul_f64_e32 v[125:126], s[20:21], v[110:111]
	v_mul_f64_e32 v[127:128], s[2:3], v[110:111]
	;; [unrolled: 1-line block ×12, first 2 shown]
	s_wait_alu 0xfffe
	v_mul_f64_e32 v[149:150], s[26:27], v[102:103]
	v_mul_f64_e32 v[110:111], s[16:17], v[110:111]
	;; [unrolled: 1-line block ×3, first 2 shown]
	v_add_f64_e32 v[38:39], v[38:39], v[42:43]
	v_add_f64_e32 v[36:37], v[36:37], v[40:41]
	v_mul_f64_e32 v[40:41], s[24:25], v[114:115]
	v_mul_f64_e32 v[42:43], s[22:23], v[112:113]
	v_fma_f64 v[159:160], v[90:91], s[26:27], v[117:118]
	v_fma_f64 v[161:162], v[94:95], s[16:17], v[119:120]
	;; [unrolled: 1-line block ×3, first 2 shown]
	v_fma_f64 v[119:120], v[94:95], s[16:17], -v[119:120]
	v_fma_f64 v[163:164], v[90:91], s[28:29], v[121:122]
	v_add_f64_e64 v[98:99], v[123:124], -v[98:99]
	v_fma_f64 v[123:124], v[96:97], s[6:7], v[127:128]
	v_fma_f64 v[167:168], v[84:85], s[14:15], v[135:136]
	;; [unrolled: 1-line block ×3, first 2 shown]
	v_add_f64_e32 v[82:83], v[82:83], v[108:109]
	v_add_f64_e64 v[104:105], v[141:142], -v[104:105]
	v_add_f64_e64 v[76:77], v[143:144], -v[76:77]
	v_fma_f64 v[141:142], v[74:75], s[2:3], v[147:148]
	v_fma_f64 v[143:144], v[74:75], s[2:3], -v[147:148]
	v_fma_f64 v[147:148], v[74:75], s[16:17], v[149:150]
	v_fma_f64 v[149:150], v[74:75], s[16:17], -v[149:150]
	v_add_f64_e32 v[106:107], v[106:107], v[110:111]
	v_mul_f64_e32 v[110:111], s[12:13], v[92:93]
	v_add_f64_e32 v[38:39], v[38:39], v[46:47]
	v_add_f64_e32 v[36:37], v[36:37], v[44:45]
	v_mul_f64_e32 v[44:45], s[20:21], v[114:115]
	v_mul_f64_e32 v[46:47], s[18:19], v[112:113]
	;; [unrolled: 1-line block ×4, first 2 shown]
	v_fma_f64 v[151:152], v[90:91], s[30:31], v[40:41]
	v_fma_f64 v[153:154], v[94:95], s[24:25], v[42:43]
	v_fma_f64 v[40:41], v[90:91], s[22:23], v[40:41]
	v_fma_f64 v[42:43], v[94:95], s[24:25], -v[42:43]
	v_add_f64_e32 v[161:162], v[20:21], v[161:162]
	v_add_f64_e32 v[119:120], v[20:21], v[119:120]
	;; [unrolled: 1-line block ×7, first 2 shown]
	v_mul_f64_e32 v[36:37], s[18:19], v[102:103]
	v_fma_f64 v[155:156], v[90:91], s[0:1], v[44:45]
	v_fma_f64 v[157:158], v[94:95], s[20:21], v[46:47]
	;; [unrolled: 1-line block ×3, first 2 shown]
	v_fma_f64 v[46:47], v[94:95], s[20:21], -v[46:47]
	v_fma_f64 v[165:166], v[94:95], s[12:13], v[112:113]
	v_fma_f64 v[90:91], v[90:91], s[10:11], v[121:122]
	v_fma_f64 v[94:95], v[94:95], s[12:13], -v[112:113]
	v_mul_f64_e32 v[102:103], s[30:31], v[102:103]
	v_add_f64_e32 v[100:101], v[100:101], v[114:115]
	v_mul_f64_e32 v[38:39], s[18:19], v[80:81]
	v_fma_f64 v[112:113], v[96:97], s[0:1], v[125:126]
	v_fma_f64 v[114:115], v[96:97], s[18:19], v[125:126]
	;; [unrolled: 1-line block ×9, first 2 shown]
	v_add_f64_e32 v[108:109], v[22:23], v[151:152]
	v_add_f64_e32 v[151:152], v[20:21], v[153:154]
	;; [unrolled: 1-line block ×6, first 2 shown]
	v_fma_f64 v[32:33], v[84:85], s[22:23], v[137:138]
	v_fma_f64 v[34:35], v[84:85], s[30:31], v[137:138]
	;; [unrolled: 1-line block ×4, first 2 shown]
	v_mul_f64_e32 v[139:140], s[28:29], v[80:81]
	v_mul_f64_e32 v[80:81], s[30:31], v[80:81]
	v_add_f64_e32 v[153:154], v[22:23], v[155:156]
	v_add_f64_e32 v[157:158], v[20:21], v[157:158]
	;; [unrolled: 1-line block ×8, first 2 shown]
	v_fma_f64 v[98:99], v[74:75], s[20:21], v[36:37]
	v_fma_f64 v[36:37], v[74:75], s[20:21], -v[36:37]
	v_fma_f64 v[155:156], v[74:75], s[24:25], v[102:103]
	v_fma_f64 v[74:75], v[74:75], s[24:25], -v[102:103]
	v_add_f64_e32 v[22:23], v[22:23], v[100:101]
	v_fma_f64 v[100:101], v[88:89], s[20:21], v[38:39]
	v_fma_f64 v[38:39], v[88:89], s[20:21], -v[38:39]
	v_fma_f64 v[102:103], v[88:89], s[2:3], v[145:146]
	v_fma_f64 v[145:146], v[88:89], s[2:3], -v[145:146]
	v_add_f64_e32 v[108:109], v[131:132], v[108:109]
	v_mul_f64_e32 v[131:132], s[2:3], v[92:93]
	v_add_f64_e32 v[141:142], v[141:142], v[151:152]
	v_mul_f64_e32 v[151:152], s[16:17], v[92:93]
	;; [unrolled: 2-line block ×4, first 2 shown]
	v_add_f64_e32 v[26:27], v[30:31], v[26:27]
	v_add_f64_e32 v[24:25], v[28:29], v[24:25]
	;; [unrolled: 1-line block ×5, first 2 shown]
	v_mul_f64_e32 v[159:160], s[20:21], v[86:87]
	v_fma_f64 v[28:29], v[88:89], s[12:13], v[139:140]
	v_fma_f64 v[30:31], v[88:89], s[12:13], -v[139:140]
	v_fma_f64 v[139:140], v[88:89], s[24:25], v[80:81]
	v_fma_f64 v[80:81], v[88:89], s[24:25], -v[80:81]
	v_mul_f64_e32 v[88:89], s[24:25], v[92:93]
	v_mul_f64_e32 v[92:93], s[20:21], v[92:93]
	v_add_f64_e32 v[153:154], v[167:168], v[153:154]
	v_mul_f64_e32 v[167:168], s[6:7], v[78:79]
	v_add_f64_e32 v[44:45], v[135:136], v[44:45]
	v_mul_f64_e32 v[135:136], s[28:29], v[78:79]
	v_mul_f64_e32 v[78:79], s[26:27], v[78:79]
	v_add_f64_e32 v[84:85], v[84:85], v[90:91]
	v_add_f64_e32 v[36:37], v[36:37], v[94:95]
	;; [unrolled: 1-line block ×9, first 2 shown]
	v_mul_f64_e32 v[157:158], s[16:17], v[86:87]
	v_mul_f64_e32 v[149:150], s[12:13], v[86:87]
	;; [unrolled: 1-line block ×9, first 2 shown]
	v_add_f64_e64 v[68:69], v[133:134], -v[68:69]
	v_fma_f64 v[133:134], v[64:65], s[24:25], -v[143:144]
	v_add_f64_e32 v[40:41], v[114:115], v[40:41]
	v_add_f64_e32 v[18:19], v[26:27], v[18:19]
	;; [unrolled: 1-line block ×3, first 2 shown]
	v_fma_f64 v[24:25], v[66:67], s[10:11], v[110:111]
	v_fma_f64 v[26:27], v[66:67], s[28:29], v[110:111]
	;; [unrolled: 1-line block ×3, first 2 shown]
	v_add_f64_e32 v[34:35], v[127:128], v[34:35]
	v_add_f64_e32 v[38:39], v[38:39], v[42:43]
	;; [unrolled: 1-line block ×4, first 2 shown]
	v_fma_f64 v[76:77], v[66:67], s[30:31], v[88:89]
	v_fma_f64 v[82:83], v[66:67], s[22:23], v[88:89]
	;; [unrolled: 1-line block ×5, first 2 shown]
	v_add_f64_e32 v[72:73], v[72:73], v[92:93]
	v_fma_f64 v[92:93], v[64:65], s[24:25], v[143:144]
	v_fma_f64 v[143:144], v[64:65], s[2:3], v[167:168]
	v_fma_f64 v[151:152], v[64:65], s[2:3], -v[167:168]
	v_fma_f64 v[163:164], v[64:65], s[12:13], v[135:136]
	v_fma_f64 v[135:136], v[64:65], s[12:13], -v[135:136]
	;; [unrolled: 2-line block ×3, first 2 shown]
	v_add_f64_e32 v[84:85], v[96:97], v[84:85]
	v_add_f64_e32 v[36:37], v[80:81], v[36:37]
	v_add_f64_e32 v[78:79], v[112:113], v[108:109]
	v_add_f64_e32 v[30:31], v[30:31], v[74:75]
	v_add_f64_e32 v[44:45], v[123:124], v[44:45]
	v_add_f64_e32 v[46:47], v[145:146], v[46:47]
	v_add_f64_e32 v[42:43], v[121:122], v[153:154]
	v_add_f64_e32 v[102:103], v[102:103], v[147:148]
	v_add_f64_e32 v[28:29], v[28:29], v[155:156]
	v_add_f64_e32 v[74:75], v[129:130], v[137:138]
	v_add_f64_e32 v[80:81], v[139:140], v[98:99]
	v_add_f64_e32 v[22:23], v[106:107], v[22:23]
	v_add_f64_e32 v[20:21], v[104:105], v[20:21]
	v_fma_f64 v[96:97], v[50:51], s[10:11], v[149:150]
	v_fma_f64 v[98:99], v[50:51], s[28:29], v[149:150]
	v_add_f64_e32 v[14:15], v[18:19], v[14:15]
	v_add_f64_e32 v[12:13], v[16:17], v[12:13]
	v_fma_f64 v[16:17], v[50:51], s[26:27], v[157:158]
	v_fma_f64 v[18:19], v[50:51], s[14:15], v[157:158]
	;; [unrolled: 1-line block ×6, first 2 shown]
	v_add_f64_e32 v[54:55], v[54:55], v[86:87]
	v_add_f64_e64 v[52:53], v[117:118], -v[52:53]
	v_fma_f64 v[86:87], v[48:49], s[16:17], v[90:91]
	v_fma_f64 v[90:91], v[48:49], s[16:17], -v[90:91]
	v_fma_f64 v[112:113], v[48:49], s[20:21], v[94:95]
	v_fma_f64 v[94:95], v[48:49], s[20:21], -v[94:95]
	;; [unrolled: 2-line block ×4, first 2 shown]
	v_add_f64_e32 v[26:27], v[26:27], v[40:41]
	v_add_f64_e32 v[34:35], v[110:111], v[34:35]
	;; [unrolled: 1-line block ×38, first 2 shown]
	v_mad_u32_u24 v44, 0xa0, v56, v116
	v_add_f64_e32 v[6:7], v[80:81], v[6:7]
	v_add_f64_e32 v[4:5], v[82:83], v[4:5]
	ds_store_b128 v44, v[28:31] offset:32
	ds_store_b128 v44, v[24:27] offset:48
	;; [unrolled: 1-line block ×9, first 2 shown]
	ds_store_b128 v44, v[4:7]
	ds_store_b128 v44, v[0:3] offset:160
.LBB0_19:
	s_or_b32 exec_lo, exec_lo, s33
	v_and_b32_e32 v4, 0xff, v56
	v_add_nc_u32_e32 v57, 0x9a, v56
	v_add_nc_u32_e32 v6, 0x134, v56
	;; [unrolled: 1-line block ×4, first 2 shown]
	v_mul_lo_u16 v4, 0x75, v4
	v_and_b32_e32 v9, 0xffff, v57
	v_and_b32_e32 v10, 0xffff, v6
	global_wb scope:SCOPE_SE
	s_wait_dscnt 0x0
	s_barrier_signal -1
	v_lshrrev_b16 v4, 8, v4
	v_mul_u32_u24_e32 v64, 0xba2f, v9
	v_and_b32_e32 v9, 0xffff, v8
	v_mul_u32_u24_e32 v10, 0xba2f, v10
	s_barrier_wait -1
	v_sub_nc_u16 v5, v56, v4
	v_lshrrev_b32_e32 v68, 19, v64
	global_inv scope:SCOPE_SE
	v_lshrrev_b32_e32 v69, 19, v10
	v_cmp_gt_u32_e64 s0, 0x42, v56
	v_lshrrev_b16 v5, 1, v5
	s_delay_alu instid0(VALU_DEP_1) | instskip(NEXT) | instid1(VALU_DEP_1)
	v_and_b32_e32 v5, 0x7f, v5
	v_add_nc_u16 v4, v5, v4
	v_and_b32_e32 v5, 0xffff, v7
	s_delay_alu instid0(VALU_DEP_2) | instskip(NEXT) | instid1(VALU_DEP_2)
	v_lshrrev_b16 v67, 3, v4
	v_mul_u32_u24_e32 v4, 0xba2f, v5
	v_mul_u32_u24_e32 v5, 0xba2f, v9
	s_delay_alu instid0(VALU_DEP_3) | instskip(NEXT) | instid1(VALU_DEP_3)
	v_mul_lo_u16 v9, v67, 11
	v_lshrrev_b32_e32 v70, 19, v4
	v_mul_lo_u16 v4, v68, 11
	s_delay_alu instid0(VALU_DEP_4)
	v_lshrrev_b32_e32 v71, 19, v5
	v_mul_lo_u16 v5, v69, 11
	v_sub_nc_u16 v9, v56, v9
	v_mul_lo_u16 v10, v70, 11
	v_sub_nc_u16 v4, v57, v4
	;; [unrolled: 2-line block ×3, first 2 shown]
	v_and_b32_e32 v6, 0xff, v9
	v_sub_nc_u16 v7, v7, v10
	v_and_b32_e32 v4, 0xffff, v4
	v_sub_nc_u16 v8, v8, v11
	v_and_b32_e32 v5, 0xffff, v5
	v_lshlrev_b32_e32 v72, 4, v6
	v_and_b32_e32 v9, 0xffff, v7
	v_lshlrev_b32_e32 v73, 4, v4
	;; [unrolled: 2-line block ×3, first 2 shown]
	global_load_b128 v[4:7], v72, s[4:5]
	v_lshlrev_b32_e32 v75, 4, v9
	global_load_b128 v[8:11], v73, s[4:5]
	v_lshlrev_b32_e32 v76, 4, v12
	s_clause 0x2
	global_load_b128 v[12:15], v74, s[4:5]
	global_load_b128 v[16:19], v75, s[4:5]
	;; [unrolled: 1-line block ×3, first 2 shown]
	ds_load_b128 v[24:27], v116 offset:12320
	ds_load_b128 v[28:31], v116 offset:14784
	;; [unrolled: 1-line block ×6, first 2 shown]
	s_wait_loadcnt_dscnt 0x405
	v_mul_f64_e32 v[48:49], v[26:27], v[6:7]
	v_mul_f64_e32 v[6:7], v[24:25], v[6:7]
	s_wait_loadcnt_dscnt 0x304
	v_mul_f64_e32 v[50:51], v[30:31], v[10:11]
	v_mul_f64_e32 v[10:11], v[28:29], v[10:11]
	;; [unrolled: 3-line block ×5, first 2 shown]
	v_fma_f64 v[48:49], v[24:25], v[4:5], -v[48:49]
	v_fma_f64 v[4:5], v[26:27], v[4:5], v[6:7]
	v_fma_f64 v[6:7], v[28:29], v[8:9], -v[50:51]
	v_fma_f64 v[8:9], v[30:31], v[8:9], v[10:11]
	;; [unrolled: 2-line block ×5, first 2 shown]
	ds_load_b128 v[12:15], v116
	ds_load_b128 v[16:19], v116 offset:2464
	ds_load_b128 v[20:23], v116 offset:4928
	ds_load_b128 v[24:27], v116 offset:7392
	global_wb scope:SCOPE_SE
	s_wait_dscnt 0x0
	s_barrier_signal -1
	s_barrier_wait -1
	global_inv scope:SCOPE_SE
	v_add_f64_e64 v[28:29], v[12:13], -v[48:49]
	v_add_f64_e64 v[30:31], v[14:15], -v[4:5]
	;; [unrolled: 1-line block ×10, first 2 shown]
	v_mul_u32_u24_e32 v48, 0x160, v71
	s_delay_alu instid0(VALU_DEP_1)
	v_add3_u32 v48, 0, v48, v76
	v_fma_f64 v[40:41], v[12:13], 2.0, -v[28:29]
	v_fma_f64 v[42:43], v[14:15], 2.0, -v[30:31]
	;; [unrolled: 1-line block ×10, first 2 shown]
	v_and_b32_e32 v44, 0xffff, v67
	v_mul_u32_u24_e32 v45, 0x160, v68
	v_mul_u32_u24_e32 v46, 0x160, v69
	;; [unrolled: 1-line block ×3, first 2 shown]
	s_delay_alu instid0(VALU_DEP_4) | instskip(NEXT) | instid1(VALU_DEP_4)
	v_mul_u32_u24_e32 v44, 0x160, v44
	v_add3_u32 v45, 0, v45, v73
	s_delay_alu instid0(VALU_DEP_4) | instskip(NEXT) | instid1(VALU_DEP_4)
	v_add3_u32 v46, 0, v46, v74
	v_add3_u32 v47, 0, v47, v75
	s_delay_alu instid0(VALU_DEP_4)
	v_add3_u32 v44, 0, v44, v72
	ds_store_b128 v44, v[40:43]
	ds_store_b128 v44, v[28:31] offset:176
	ds_store_b128 v45, v[16:19]
	ds_store_b128 v45, v[32:35] offset:176
	;; [unrolled: 2-line block ×5, first 2 shown]
	global_wb scope:SCOPE_SE
	s_wait_dscnt 0x0
	s_barrier_signal -1
	s_barrier_wait -1
	global_inv scope:SCOPE_SE
	ds_load_b128 v[28:31], v116
	ds_load_b128 v[48:51], v116 offset:3520
	ds_load_b128 v[44:47], v116 offset:7040
	;; [unrolled: 1-line block ×6, first 2 shown]
                                        ; implicit-def: $vgpr26_vgpr27
                                        ; implicit-def: $vgpr22_vgpr23
                                        ; implicit-def: $vgpr18_vgpr19
	s_and_saveexec_b32 s1, s0
	s_cbranch_execz .LBB0_21
; %bb.20:
	ds_load_b128 v[4:7], v116 offset:2464
	ds_load_b128 v[12:15], v116 offset:5984
	;; [unrolled: 1-line block ×7, first 2 shown]
.LBB0_21:
	s_wait_alu 0xfffe
	s_or_b32 exec_lo, exec_lo, s1
	v_lshrrev_b16 v65, 1, v56
	s_mov_b32 s6, 0x37e14327
	s_mov_b32 s10, 0xe976ee23
	;; [unrolled: 1-line block ×4, first 2 shown]
	v_and_b32_e32 v65, 0x7f, v65
	s_mov_b32 s2, 0x429ad128
	s_mov_b32 s3, 0x3febfeb5
	;; [unrolled: 1-line block ×4, first 2 shown]
	v_mul_lo_u16 v65, 0xbb, v65
	s_mov_b32 s12, 0xaaaaaaaa
	s_mov_b32 s20, 0xb247c609
	;; [unrolled: 1-line block ×4, first 2 shown]
	v_lshrrev_b16 v101, 11, v65
	s_mov_b32 s21, 0x3fd5d0dc
	s_mov_b32 s15, 0x3fe77f67
	s_mov_b32 s19, 0xbfe77f67
	s_mov_b32 s23, 0xbfd5d0dc
	v_mul_lo_u16 v65, v101, 22
	s_wait_alu 0xfffe
	s_mov_b32 s18, s14
	s_mov_b32 s22, s20
	s_mov_b32 s24, 0x37c3f68c
	s_mov_b32 s25, 0x3fdc38aa
	v_sub_nc_u16 v65, v56, v65
	s_delay_alu instid0(VALU_DEP_1) | instskip(NEXT) | instid1(VALU_DEP_1)
	v_and_b32_e32 v102, 0xff, v65
	v_mul_u32_u24_e32 v65, 6, v102
	s_delay_alu instid0(VALU_DEP_1)
	v_lshlrev_b32_e32 v85, 4, v65
	s_clause 0x5
	global_load_b128 v[65:68], v85, s[4:5] offset:176
	global_load_b128 v[69:72], v85, s[4:5] offset:192
	;; [unrolled: 1-line block ×6, first 2 shown]
	global_wb scope:SCOPE_SE
	s_wait_loadcnt_dscnt 0x0
	s_barrier_signal -1
	s_barrier_wait -1
	global_inv scope:SCOPE_SE
	v_mul_f64_e32 v[89:90], v[50:51], v[67:68]
	v_mul_f64_e32 v[67:68], v[48:49], v[67:68]
	v_mul_f64_e32 v[91:92], v[46:47], v[71:72]
	v_mul_f64_e32 v[71:72], v[44:45], v[71:72]
	v_mul_f64_e32 v[93:94], v[54:55], v[75:76]
	v_mul_f64_e32 v[75:76], v[52:53], v[75:76]
	v_mul_f64_e32 v[95:96], v[42:43], v[79:80]
	v_mul_f64_e32 v[79:80], v[40:41], v[79:80]
	v_mul_f64_e32 v[97:98], v[38:39], v[83:84]
	v_mul_f64_e32 v[83:84], v[36:37], v[83:84]
	v_mul_f64_e32 v[99:100], v[34:35], v[87:88]
	v_mul_f64_e32 v[87:88], v[32:33], v[87:88]
	v_fma_f64 v[48:49], v[48:49], v[65:66], -v[89:90]
	v_fma_f64 v[50:51], v[50:51], v[65:66], v[67:68]
	v_fma_f64 v[44:45], v[44:45], v[69:70], -v[91:92]
	v_fma_f64 v[46:47], v[46:47], v[69:70], v[71:72]
	;; [unrolled: 2-line block ×6, first 2 shown]
	v_add_f64_e32 v[65:66], v[48:49], v[52:53]
	v_add_f64_e32 v[67:68], v[50:51], v[54:55]
	;; [unrolled: 1-line block ×4, first 2 shown]
	v_add_f64_e64 v[40:41], v[44:45], -v[40:41]
	v_add_f64_e64 v[42:43], v[46:47], -v[42:43]
	v_add_f64_e32 v[44:45], v[36:37], v[32:33]
	v_add_f64_e32 v[46:47], v[38:39], v[34:35]
	v_add_f64_e64 v[32:33], v[32:33], -v[36:37]
	v_add_f64_e64 v[34:35], v[34:35], -v[38:39]
	;; [unrolled: 1-line block ×4, first 2 shown]
	v_add_f64_e32 v[48:49], v[69:70], v[65:66]
	v_add_f64_e32 v[50:51], v[71:72], v[67:68]
	v_add_f64_e64 v[52:53], v[65:66], -v[44:45]
	v_add_f64_e64 v[54:55], v[67:68], -v[46:47]
	;; [unrolled: 1-line block ×6, first 2 shown]
	v_add_f64_e32 v[40:41], v[32:33], v[40:41]
	v_add_f64_e32 v[42:43], v[34:35], v[42:43]
	v_add_f64_e64 v[32:33], v[36:37], -v[32:33]
	v_add_f64_e64 v[34:35], v[38:39], -v[34:35]
	;; [unrolled: 1-line block ×4, first 2 shown]
	v_add_f64_e32 v[48:49], v[44:45], v[48:49]
	v_add_f64_e32 v[50:51], v[46:47], v[50:51]
	v_add_f64_e64 v[44:45], v[44:45], -v[69:70]
	v_add_f64_e64 v[46:47], v[46:47], -v[71:72]
	v_mul_f64_e32 v[52:53], s[6:7], v[52:53]
	v_mul_f64_e32 v[54:55], s[6:7], v[54:55]
	;; [unrolled: 1-line block ×6, first 2 shown]
	v_add_f64_e32 v[36:37], v[40:41], v[36:37]
	v_add_f64_e32 v[38:39], v[42:43], v[38:39]
	v_add_f64_e32 v[28:29], v[28:29], v[48:49]
	v_add_f64_e32 v[30:31], v[30:31], v[50:51]
	v_mul_f64_e32 v[69:70], s[16:17], v[44:45]
	v_mul_f64_e32 v[71:72], s[16:17], v[46:47]
	v_fma_f64 v[40:41], v[44:45], s[16:17], v[52:53]
	v_fma_f64 v[42:43], v[46:47], s[16:17], v[54:55]
	;; [unrolled: 1-line block ×4, first 2 shown]
	v_fma_f64 v[73:74], v[77:78], s[2:3], -v[73:74]
	v_fma_f64 v[75:76], v[79:80], s[2:3], -v[75:76]
	s_wait_alu 0xfffe
	v_fma_f64 v[32:33], v[32:33], s[22:23], -v[81:82]
	v_fma_f64 v[34:35], v[34:35], s[22:23], -v[83:84]
	;; [unrolled: 1-line block ×4, first 2 shown]
	v_fma_f64 v[48:49], v[48:49], s[12:13], v[28:29]
	v_fma_f64 v[50:51], v[50:51], s[12:13], v[30:31]
	v_fma_f64 v[65:66], v[65:66], s[14:15], -v[69:70]
	v_fma_f64 v[67:68], v[67:68], s[14:15], -v[71:72]
	v_fma_f64 v[69:70], v[36:37], s[24:25], v[44:45]
	v_fma_f64 v[71:72], v[38:39], s[24:25], v[46:47]
	v_fma_f64 v[46:47], v[36:37], s[24:25], v[73:74]
	v_fma_f64 v[44:45], v[38:39], s[24:25], v[75:76]
	v_fma_f64 v[73:74], v[36:37], s[24:25], v[32:33]
	v_fma_f64 v[75:76], v[38:39], s[24:25], v[34:35]
	v_add_f64_e32 v[77:78], v[40:41], v[48:49]
	v_add_f64_e32 v[79:80], v[42:43], v[50:51]
	;; [unrolled: 1-line block ×6, first 2 shown]
	v_and_b32_e32 v65, 0xffff, v101
	v_lshlrev_b32_e32 v66, 4, v102
	s_delay_alu instid0(VALU_DEP_2) | instskip(NEXT) | instid1(VALU_DEP_1)
	v_mul_u32_u24_e32 v65, 0x9a0, v65
	v_add3_u32 v65, 0, v65, v66
	v_add_f64_e32 v[32:33], v[71:72], v[77:78]
	v_add_f64_e64 v[34:35], v[79:80], -v[69:70]
	v_add_f64_e32 v[36:37], v[75:76], v[52:53]
	v_add_f64_e64 v[38:39], v[54:55], -v[73:74]
	v_add_f64_e64 v[40:41], v[48:49], -v[44:45]
	v_add_f64_e32 v[42:43], v[46:47], v[50:51]
	v_add_f64_e32 v[44:45], v[44:45], v[48:49]
	v_add_f64_e64 v[46:47], v[50:51], -v[46:47]
	v_add_f64_e64 v[48:49], v[52:53], -v[75:76]
	v_add_f64_e32 v[50:51], v[73:74], v[54:55]
	v_add_f64_e64 v[52:53], v[77:78], -v[71:72]
	v_add_f64_e32 v[54:55], v[69:70], v[79:80]
	ds_store_b128 v65, v[28:31]
	ds_store_b128 v65, v[32:35] offset:352
	ds_store_b128 v65, v[36:39] offset:704
	;; [unrolled: 1-line block ×6, first 2 shown]
	s_and_saveexec_b32 s1, s0
	s_cbranch_execz .LBB0_23
; %bb.22:
	v_lshrrev_b32_e32 v28, 20, v64
	s_delay_alu instid0(VALU_DEP_1) | instskip(NEXT) | instid1(VALU_DEP_1)
	v_mul_lo_u16 v28, v28, 22
	v_sub_nc_u16 v28, v57, v28
	s_delay_alu instid0(VALU_DEP_1) | instskip(NEXT) | instid1(VALU_DEP_1)
	v_and_b32_e32 v72, 0xffff, v28
	v_mul_u32_u24_e32 v28, 6, v72
	s_delay_alu instid0(VALU_DEP_1)
	v_lshlrev_b32_e32 v48, 4, v28
	s_clause 0x5
	global_load_b128 v[28:31], v48, s[4:5] offset:192
	global_load_b128 v[32:35], v48, s[4:5] offset:240
	;; [unrolled: 1-line block ×6, first 2 shown]
	s_wait_loadcnt 0x5
	v_mul_f64_e32 v[52:53], v[8:9], v[30:31]
	s_wait_loadcnt 0x4
	v_mul_f64_e32 v[54:55], v[20:21], v[34:35]
	s_wait_loadcnt 0x3
	v_mul_f64_e32 v[64:65], v[12:13], v[38:39]
	s_wait_loadcnt 0x2
	v_mul_f64_e32 v[66:67], v[24:25], v[42:43]
	v_mul_f64_e32 v[30:31], v[10:11], v[30:31]
	v_mul_f64_e32 v[34:35], v[22:23], v[34:35]
	;; [unrolled: 1-line block ×4, first 2 shown]
	s_wait_loadcnt 0x1
	v_mul_f64_e32 v[68:69], v[18:19], v[46:47]
	s_wait_loadcnt 0x0
	v_mul_f64_e32 v[70:71], v[2:3], v[50:51]
	v_mul_f64_e32 v[50:51], v[0:1], v[50:51]
	;; [unrolled: 1-line block ×3, first 2 shown]
	v_fma_f64 v[10:11], v[10:11], v[28:29], v[52:53]
	v_fma_f64 v[22:23], v[22:23], v[32:33], v[54:55]
	;; [unrolled: 1-line block ×4, first 2 shown]
	v_fma_f64 v[8:9], v[8:9], v[28:29], -v[30:31]
	v_fma_f64 v[20:21], v[20:21], v[32:33], -v[34:35]
	;; [unrolled: 1-line block ×6, first 2 shown]
	v_fma_f64 v[2:3], v[2:3], v[48:49], v[50:51]
	v_fma_f64 v[18:19], v[18:19], v[44:45], v[46:47]
	v_add_f64_e32 v[28:29], v[10:11], v[22:23]
	v_add_f64_e64 v[10:11], v[10:11], -v[22:23]
	v_add_f64_e32 v[30:31], v[14:15], v[26:27]
	v_add_f64_e64 v[14:15], v[14:15], -v[26:27]
	;; [unrolled: 2-line block ×4, first 2 shown]
	v_add_f64_e64 v[36:37], v[16:17], -v[0:1]
	v_add_f64_e32 v[0:1], v[0:1], v[16:17]
	v_add_f64_e32 v[20:21], v[2:3], v[18:19]
	v_add_f64_e64 v[2:3], v[18:19], -v[2:3]
	v_add_f64_e32 v[16:17], v[28:29], v[30:31]
	v_add_f64_e64 v[42:43], v[10:11], -v[14:15]
	;; [unrolled: 2-line block ×3, first 2 shown]
	v_add_f64_e64 v[22:23], v[36:37], -v[8:9]
	v_add_f64_e64 v[26:27], v[34:35], -v[0:1]
	;; [unrolled: 1-line block ×5, first 2 shown]
	v_add_f64_e32 v[8:9], v[36:37], v[8:9]
	v_add_f64_e64 v[36:37], v[12:13], -v[36:37]
	v_add_f64_e32 v[10:11], v[2:3], v[10:11]
	v_add_f64_e64 v[48:49], v[14:15], -v[2:3]
	;; [unrolled: 2-line block ×3, first 2 shown]
	v_add_f64_e32 v[18:19], v[0:1], v[18:19]
	v_mul_f64_e32 v[46:47], s[2:3], v[38:39]
	v_mul_f64_e32 v[22:23], s[10:11], v[22:23]
	;; [unrolled: 1-line block ×4, first 2 shown]
	v_add_f64_e32 v[8:9], v[8:9], v[12:13]
	v_add_f64_e32 v[10:11], v[10:11], v[14:15]
	;; [unrolled: 1-line block ×3, first 2 shown]
	v_add_f64_e64 v[6:7], v[28:29], -v[30:31]
	v_mul_f64_e32 v[28:29], s[16:17], v[20:21]
	v_mul_f64_e32 v[30:31], s[10:11], v[40:41]
	v_add_f64_e32 v[0:1], v[4:5], v[18:19]
	v_mul_f64_e32 v[40:41], s[2:3], v[42:43]
	v_add_f64_e64 v[4:5], v[32:33], -v[34:35]
	v_mul_f64_e32 v[32:33], s[16:17], v[44:45]
	v_fma_f64 v[12:13], v[36:37], s[20:21], v[22:23]
	v_fma_f64 v[14:15], v[20:21], s[16:17], v[24:25]
	;; [unrolled: 1-line block ×3, first 2 shown]
	v_fma_f64 v[34:35], v[36:37], s[22:23], -v[46:47]
	v_fma_f64 v[22:23], v[38:39], s[2:3], -v[22:23]
	v_fma_f64 v[16:17], v[16:17], s[12:13], v[2:3]
	v_fma_f64 v[24:25], v[6:7], s[18:19], -v[24:25]
	v_fma_f64 v[6:7], v[6:7], s[14:15], -v[28:29]
	v_fma_f64 v[28:29], v[48:49], s[20:21], v[30:31]
	v_fma_f64 v[18:19], v[18:19], s[12:13], v[0:1]
	v_fma_f64 v[36:37], v[48:49], s[22:23], -v[40:41]
	v_fma_f64 v[26:27], v[4:5], s[18:19], -v[26:27]
	;; [unrolled: 1-line block ×4, first 2 shown]
	v_fma_f64 v[12:13], v[8:9], s[24:25], v[12:13]
	v_lshrrev_b16 v42, 1, v57
	v_fma_f64 v[32:33], v[8:9], s[24:25], v[34:35]
	v_fma_f64 v[8:9], v[8:9], s[24:25], v[22:23]
	v_add_f64_e32 v[34:35], v[14:15], v[16:17]
	v_add_f64_e32 v[22:23], v[24:25], v[16:17]
	;; [unrolled: 1-line block ×3, first 2 shown]
	v_fma_f64 v[28:29], v[10:11], s[24:25], v[28:29]
	v_add_f64_e32 v[38:39], v[20:21], v[18:19]
	v_fma_f64 v[36:37], v[10:11], s[24:25], v[36:37]
	v_add_f64_e32 v[40:41], v[26:27], v[18:19]
	;; [unrolled: 2-line block ×3, first 2 shown]
	v_add_f64_e64 v[26:27], v[34:35], -v[12:13]
	v_add_f64_e32 v[10:11], v[32:33], v[22:23]
	v_add_f64_e64 v[22:23], v[22:23], -v[32:33]
	v_add_f64_e64 v[14:15], v[16:17], -v[8:9]
	v_add_f64_e32 v[24:25], v[28:29], v[38:39]
	v_add_f64_e32 v[18:19], v[8:9], v[16:17]
	;; [unrolled: 1-line block ×4, first 2 shown]
	v_add_f64_e64 v[16:17], v[4:5], -v[30:31]
	v_add_f64_e32 v[12:13], v[30:31], v[4:5]
	v_add_f64_e64 v[8:9], v[40:41], -v[36:37]
	v_add_f64_e64 v[4:5], v[38:39], -v[28:29]
	v_and_b32_e32 v28, 0x7f, v42
	v_lshlrev_b32_e32 v29, 4, v72
	s_delay_alu instid0(VALU_DEP_2) | instskip(NEXT) | instid1(VALU_DEP_1)
	v_mul_lo_u16 v28, 0xbb, v28
	v_lshrrev_b16 v28, 11, v28
	s_delay_alu instid0(VALU_DEP_1) | instskip(NEXT) | instid1(VALU_DEP_1)
	v_and_b32_e32 v28, 0xffff, v28
	v_mul_u32_u24_e32 v28, 0x9a0, v28
	s_delay_alu instid0(VALU_DEP_1)
	v_add3_u32 v28, 0, v28, v29
	ds_store_b128 v28, v[0:3]
	ds_store_b128 v28, v[24:27] offset:352
	ds_store_b128 v28, v[20:23] offset:704
	ds_store_b128 v28, v[16:19] offset:1056
	ds_store_b128 v28, v[12:15] offset:1408
	ds_store_b128 v28, v[8:11] offset:1760
	ds_store_b128 v28, v[4:7] offset:2112
.LBB0_23:
	s_wait_alu 0xfffe
	s_or_b32 exec_lo, exec_lo, s1
	v_dual_mov_b32 v1, 0 :: v_dual_lshlrev_b32 v0, 2, v56
	global_wb scope:SCOPE_SE
	s_wait_dscnt 0x0
	s_barrier_signal -1
	s_barrier_wait -1
	global_inv scope:SCOPE_SE
	v_lshlrev_b64_e32 v[2:3], 4, v[0:1]
	s_mov_b32 s3, 0xbfee6f0e
	s_delay_alu instid0(VALU_DEP_1) | instskip(SKIP_1) | instid1(VALU_DEP_2)
	v_add_co_u32 v14, s0, s4, v2
	s_wait_alu 0xf1ff
	v_add_co_ci_u32_e64 v15, s0, s5, v3, s0
	s_mov_b32 s0, 0x134454ff
	s_mov_b32 s1, 0x3fee6f0e
	s_clause 0x3
	global_load_b128 v[2:5], v[14:15], off offset:2288
	global_load_b128 v[6:9], v[14:15], off offset:2304
	global_load_b128 v[10:13], v[14:15], off offset:2320
	global_load_b128 v[14:17], v[14:15], off offset:2336
	ds_load_b128 v[18:21], v116 offset:4928
	ds_load_b128 v[22:25], v116 offset:9856
	;; [unrolled: 1-line block ×8, first 2 shown]
	s_wait_alu 0xfffe
	s_mov_b32 s2, s0
	s_wait_loadcnt_dscnt 0x307
	v_mul_f64_e32 v[50:51], v[20:21], v[4:5]
	s_wait_loadcnt_dscnt 0x206
	v_mul_f64_e32 v[52:53], v[24:25], v[8:9]
	;; [unrolled: 2-line block ×3, first 2 shown]
	v_mul_f64_e32 v[68:69], v[22:23], v[8:9]
	v_mul_f64_e32 v[70:71], v[26:27], v[12:13]
	;; [unrolled: 1-line block ×3, first 2 shown]
	s_wait_loadcnt_dscnt 0x4
	v_mul_f64_e32 v[66:67], v[32:33], v[16:17]
	v_mul_f64_e32 v[72:73], v[30:31], v[16:17]
	s_wait_dscnt 0x2
	v_mul_f64_e32 v[76:77], v[40:41], v[8:9]
	s_wait_dscnt 0x1
	v_mul_f64_e32 v[78:79], v[44:45], v[12:13]
	v_mul_f64_e32 v[8:9], v[38:39], v[8:9]
	;; [unrolled: 1-line block ×4, first 2 shown]
	s_wait_dscnt 0x0
	v_mul_f64_e32 v[80:81], v[48:49], v[16:17]
	v_mul_f64_e32 v[4:5], v[34:35], v[4:5]
	;; [unrolled: 1-line block ×3, first 2 shown]
	v_fma_f64 v[18:19], v[18:19], v[2:3], -v[50:51]
	v_fma_f64 v[22:23], v[22:23], v[6:7], -v[52:53]
	;; [unrolled: 1-line block ×3, first 2 shown]
	v_fma_f64 v[24:25], v[24:25], v[6:7], v[68:69]
	v_fma_f64 v[28:29], v[28:29], v[10:11], v[70:71]
	;; [unrolled: 1-line block ×3, first 2 shown]
	v_fma_f64 v[30:31], v[30:31], v[14:15], -v[66:67]
	v_fma_f64 v[32:33], v[32:33], v[14:15], v[72:73]
	v_fma_f64 v[38:39], v[38:39], v[6:7], -v[76:77]
	v_fma_f64 v[42:43], v[42:43], v[10:11], -v[78:79]
	v_fma_f64 v[40:41], v[40:41], v[6:7], v[8:9]
	v_fma_f64 v[10:11], v[44:45], v[10:11], v[12:13]
	v_fma_f64 v[34:35], v[34:35], v[2:3], -v[74:75]
	v_fma_f64 v[46:47], v[46:47], v[14:15], -v[80:81]
	v_fma_f64 v[12:13], v[36:37], v[2:3], v[4:5]
	v_fma_f64 v[14:15], v[48:49], v[14:15], v[16:17]
	ds_load_b128 v[2:5], v116
	ds_load_b128 v[6:9], v116 offset:2464
	global_wb scope:SCOPE_SE
	s_wait_dscnt 0x0
	s_barrier_signal -1
	s_barrier_wait -1
	global_inv scope:SCOPE_SE
	v_add_f64_e32 v[66:67], v[2:3], v[18:19]
	v_add_f64_e32 v[16:17], v[22:23], v[26:27]
	;; [unrolled: 1-line block ×6, first 2 shown]
	v_add_f64_e64 v[68:69], v[20:21], -v[32:33]
	v_add_f64_e32 v[50:51], v[38:39], v[42:43]
	v_add_f64_e64 v[78:79], v[18:19], -v[30:31]
	v_add_f64_e32 v[54:55], v[40:41], v[10:11]
	v_add_f64_e32 v[74:75], v[6:7], v[34:35]
	;; [unrolled: 1-line block ×5, first 2 shown]
	v_add_f64_e64 v[70:71], v[24:25], -v[28:29]
	v_add_f64_e64 v[80:81], v[12:13], -v[14:15]
	;; [unrolled: 1-line block ×17, first 2 shown]
	v_fma_f64 v[16:17], v[16:17], -0.5, v[2:3]
	v_fma_f64 v[44:45], v[44:45], -0.5, v[4:5]
	v_add_f64_e32 v[24:25], v[72:73], v[24:25]
	v_fma_f64 v[2:3], v[36:37], -0.5, v[2:3]
	v_add_f64_e64 v[36:37], v[22:23], -v[26:27]
	v_fma_f64 v[4:5], v[48:49], -0.5, v[4:5]
	v_fma_f64 v[50:51], v[50:51], -0.5, v[6:7]
	v_add_f64_e64 v[48:49], v[40:41], -v[10:11]
	v_fma_f64 v[54:55], v[54:55], -0.5, v[8:9]
	;; [unrolled: 3-line block ×3, first 2 shown]
	v_add_f64_e64 v[64:65], v[18:19], -v[22:23]
	v_add_f64_e64 v[18:19], v[22:23], -v[18:19]
	v_add_f64_e32 v[22:23], v[66:67], v[22:23]
	v_add_f64_e32 v[38:39], v[74:75], v[38:39]
	;; [unrolled: 1-line block ×3, first 2 shown]
	v_fma_f64 v[66:67], v[68:69], s[0:1], v[16:17]
	s_wait_alu 0xfffe
	v_fma_f64 v[16:17], v[68:69], s[2:3], v[16:17]
	v_fma_f64 v[74:75], v[78:79], s[2:3], v[44:45]
	;; [unrolled: 1-line block ×15, first 2 shown]
	s_mov_b32 s0, 0x4755a5e
	s_mov_b32 s1, 0x3fe2cf23
	;; [unrolled: 1-line block ×3, first 2 shown]
	s_wait_alu 0xfffe
	s_mov_b32 s2, s0
	v_add_f64_e32 v[64:65], v[64:65], v[84:85]
	v_add_f64_e32 v[84:85], v[18:19], v[86:87]
	;; [unrolled: 1-line block ×12, first 2 shown]
	v_fma_f64 v[22:23], v[70:71], s[0:1], v[66:67]
	s_wait_alu 0xfffe
	v_fma_f64 v[16:17], v[70:71], s[2:3], v[16:17]
	v_fma_f64 v[28:29], v[36:37], s[2:3], v[74:75]
	;; [unrolled: 1-line block ×15, first 2 shown]
	s_mov_b32 s0, 0x372fe950
	s_mov_b32 s1, 0x3fd3c6ef
	v_add_f64_e32 v[2:3], v[12:13], v[30:31]
	v_add_f64_e32 v[4:5], v[18:19], v[32:33]
	;; [unrolled: 1-line block ×4, first 2 shown]
	s_wait_alu 0xfffe
	v_fma_f64 v[10:11], v[64:65], s[0:1], v[22:23]
	v_fma_f64 v[14:15], v[64:65], s[0:1], v[16:17]
	;; [unrolled: 1-line block ×16, first 2 shown]
	v_add_co_u32 v42, s0, s4, v60
	s_wait_alu 0xf1ff
	v_add_co_ci_u32_e64 v43, s0, s5, v61, s0
	v_add_co_u32 v44, s0, s4, v62
	s_wait_alu 0xf1ff
	v_add_co_ci_u32_e64 v45, s0, s5, v63, s0
	ds_store_b128 v116, v[2:5]
	ds_store_b128 v116, v[10:13] offset:2464
	ds_store_b128 v116, v[18:21] offset:4928
	;; [unrolled: 1-line block ×9, first 2 shown]
	global_wb scope:SCOPE_SE
	s_wait_dscnt 0x0
	s_barrier_signal -1
	s_barrier_wait -1
	global_inv scope:SCOPE_SE
	s_clause 0x4
	global_load_b128 v[2:5], v[42:43], off offset:12144
	global_load_b128 v[6:9], v[44:45], off offset:14608
	;; [unrolled: 1-line block ×5, first 2 shown]
	ds_load_b128 v[22:25], v116 offset:12320
	ds_load_b128 v[26:29], v116 offset:14784
	;; [unrolled: 1-line block ×6, first 2 shown]
	s_wait_loadcnt_dscnt 0x405
	v_mul_f64_e32 v[46:47], v[24:25], v[4:5]
	v_mul_f64_e32 v[4:5], v[22:23], v[4:5]
	s_wait_loadcnt_dscnt 0x304
	v_mul_f64_e32 v[48:49], v[28:29], v[8:9]
	v_mul_f64_e32 v[8:9], v[26:27], v[8:9]
	;; [unrolled: 3-line block ×5, first 2 shown]
	v_fma_f64 v[22:23], v[22:23], v[2:3], -v[46:47]
	v_fma_f64 v[24:25], v[24:25], v[2:3], v[4:5]
	v_fma_f64 v[26:27], v[26:27], v[6:7], -v[48:49]
	v_fma_f64 v[28:29], v[28:29], v[6:7], v[8:9]
	;; [unrolled: 2-line block ×5, first 2 shown]
	ds_load_b128 v[2:5], v116
	ds_load_b128 v[6:9], v116 offset:2464
	ds_load_b128 v[10:13], v116 offset:4928
	;; [unrolled: 1-line block ×3, first 2 shown]
	global_wb scope:SCOPE_SE
	s_wait_dscnt 0x0
	s_barrier_signal -1
	s_barrier_wait -1
	global_inv scope:SCOPE_SE
	v_add_f64_e64 v[18:19], v[2:3], -v[22:23]
	v_add_f64_e64 v[20:21], v[4:5], -v[24:25]
	;; [unrolled: 1-line block ×10, first 2 shown]
	v_fma_f64 v[2:3], v[2:3], 2.0, -v[18:19]
	v_fma_f64 v[4:5], v[4:5], 2.0, -v[20:21]
	;; [unrolled: 1-line block ×10, first 2 shown]
	ds_store_b128 v116, v[22:25] offset:14784
	ds_store_b128 v116, v[26:29] offset:17248
	;; [unrolled: 1-line block ×4, first 2 shown]
	ds_store_b128 v116, v[2:5]
	ds_store_b128 v116, v[6:9] offset:2464
	ds_store_b128 v116, v[10:13] offset:4928
	;; [unrolled: 1-line block ×5, first 2 shown]
	global_wb scope:SCOPE_SE
	s_wait_dscnt 0x0
	s_barrier_signal -1
	s_barrier_wait -1
	global_inv scope:SCOPE_SE
	s_and_saveexec_b32 s0, vcc_lo
	s_cbranch_execz .LBB0_25
; %bb.24:
	v_dual_mov_b32 v57, v1 :: v_dual_add_nc_u32 v0, 0x9a, v56
	v_add_co_u32 v37, vcc_lo, s8, v58
	v_lshl_add_u32 v36, v56, 4, 0
	s_delay_alu instid0(VALU_DEP_3) | instskip(SKIP_4) | instid1(VALU_DEP_4)
	v_lshlrev_b64_e32 v[2:3], 4, v[56:57]
	s_wait_alu 0xfffd
	v_add_co_ci_u32_e32 v38, vcc_lo, s9, v59, vcc_lo
	v_lshlrev_b64_e32 v[18:19], 4, v[0:1]
	v_add_nc_u32_e32 v0, 0x134, v56
	v_add_co_u32 v20, vcc_lo, v37, v2
	s_wait_alu 0xfffd
	v_add_co_ci_u32_e32 v21, vcc_lo, v38, v3, vcc_lo
	ds_load_b128 v[2:5], v36
	ds_load_b128 v[6:9], v36 offset:2464
	ds_load_b128 v[10:13], v36 offset:4928
	;; [unrolled: 1-line block ×3, first 2 shown]
	v_lshlrev_b64_e32 v[22:23], 4, v[0:1]
	v_add_nc_u32_e32 v0, 0x1ce, v56
	v_add_co_u32 v18, vcc_lo, v37, v18
	s_wait_alu 0xfffd
	v_add_co_ci_u32_e32 v19, vcc_lo, v38, v19, vcc_lo
	s_delay_alu instid0(VALU_DEP_3) | instskip(SKIP_4) | instid1(VALU_DEP_3)
	v_lshlrev_b64_e32 v[24:25], 4, v[0:1]
	v_add_nc_u32_e32 v0, 0x268, v56
	v_add_co_u32 v22, vcc_lo, v37, v22
	s_wait_alu 0xfffd
	v_add_co_ci_u32_e32 v23, vcc_lo, v38, v23, vcc_lo
	v_lshlrev_b64_e32 v[26:27], 4, v[0:1]
	v_add_nc_u32_e32 v0, 0x302, v56
	v_add_co_u32 v24, vcc_lo, v37, v24
	s_wait_alu 0xfffd
	v_add_co_ci_u32_e32 v25, vcc_lo, v38, v25, vcc_lo
	s_wait_dscnt 0x3
	global_store_b128 v[20:21], v[2:5], off
	s_wait_dscnt 0x2
	global_store_b128 v[18:19], v[6:9], off
	;; [unrolled: 2-line block ×4, first 2 shown]
	v_lshlrev_b64_e32 v[10:11], 4, v[0:1]
	v_add_nc_u32_e32 v0, 0x39c, v56
	v_add_co_u32 v26, vcc_lo, v37, v26
	s_wait_alu 0xfffd
	v_add_co_ci_u32_e32 v27, vcc_lo, v38, v27, vcc_lo
	s_delay_alu instid0(VALU_DEP_3) | instskip(SKIP_4) | instid1(VALU_DEP_4)
	v_lshlrev_b64_e32 v[12:13], 4, v[0:1]
	v_add_co_u32 v28, vcc_lo, v37, v10
	v_add_nc_u32_e32 v0, 0x436, v56
	s_wait_alu 0xfffd
	v_add_co_ci_u32_e32 v29, vcc_lo, v38, v11, vcc_lo
	v_add_co_u32 v32, vcc_lo, v37, v12
	ds_load_b128 v[2:5], v36 offset:9856
	ds_load_b128 v[6:9], v36 offset:12320
	s_wait_alu 0xfffd
	v_add_co_ci_u32_e32 v33, vcc_lo, v38, v13, vcc_lo
	ds_load_b128 v[10:13], v36 offset:14784
	ds_load_b128 v[14:17], v36 offset:17248
	;; [unrolled: 1-line block ×4, first 2 shown]
	v_lshlrev_b64_e32 v[30:31], 4, v[0:1]
	v_add_nc_u32_e32 v0, 0x4d0, v56
	s_delay_alu instid0(VALU_DEP_1) | instskip(SKIP_1) | instid1(VALU_DEP_4)
	v_lshlrev_b64_e32 v[34:35], 4, v[0:1]
	v_add_nc_u32_e32 v0, 0x56a, v56
	v_add_co_u32 v30, vcc_lo, v37, v30
	s_wait_alu 0xfffd
	v_add_co_ci_u32_e32 v31, vcc_lo, v38, v31, vcc_lo
	s_delay_alu instid0(VALU_DEP_3) | instskip(SKIP_3) | instid1(VALU_DEP_3)
	v_lshlrev_b64_e32 v[0:1], 4, v[0:1]
	v_add_co_u32 v34, vcc_lo, v37, v34
	s_wait_alu 0xfffd
	v_add_co_ci_u32_e32 v35, vcc_lo, v38, v35, vcc_lo
	v_add_co_u32 v0, vcc_lo, v37, v0
	s_wait_alu 0xfffd
	v_add_co_ci_u32_e32 v1, vcc_lo, v38, v1, vcc_lo
	s_wait_dscnt 0x5
	global_store_b128 v[26:27], v[2:5], off
	s_wait_dscnt 0x4
	global_store_b128 v[28:29], v[6:9], off
	;; [unrolled: 2-line block ×6, first 2 shown]
.LBB0_25:
	s_nop 0
	s_sendmsg sendmsg(MSG_DEALLOC_VGPRS)
	s_endpgm
	.section	.rodata,"a",@progbits
	.p2align	6, 0x0
	.amdhsa_kernel fft_rtc_fwd_len1540_factors_11_2_7_5_2_wgs_154_tpt_154_halfLds_dp_ip_CI_unitstride_sbrr_C2R_dirReg
		.amdhsa_group_segment_fixed_size 0
		.amdhsa_private_segment_fixed_size 0
		.amdhsa_kernarg_size 88
		.amdhsa_user_sgpr_count 2
		.amdhsa_user_sgpr_dispatch_ptr 0
		.amdhsa_user_sgpr_queue_ptr 0
		.amdhsa_user_sgpr_kernarg_segment_ptr 1
		.amdhsa_user_sgpr_dispatch_id 0
		.amdhsa_user_sgpr_private_segment_size 0
		.amdhsa_wavefront_size32 1
		.amdhsa_uses_dynamic_stack 0
		.amdhsa_enable_private_segment 0
		.amdhsa_system_sgpr_workgroup_id_x 1
		.amdhsa_system_sgpr_workgroup_id_y 0
		.amdhsa_system_sgpr_workgroup_id_z 0
		.amdhsa_system_sgpr_workgroup_info 0
		.amdhsa_system_vgpr_workitem_id 0
		.amdhsa_next_free_vgpr 169
		.amdhsa_next_free_sgpr 36
		.amdhsa_reserve_vcc 1
		.amdhsa_float_round_mode_32 0
		.amdhsa_float_round_mode_16_64 0
		.amdhsa_float_denorm_mode_32 3
		.amdhsa_float_denorm_mode_16_64 3
		.amdhsa_fp16_overflow 0
		.amdhsa_workgroup_processor_mode 1
		.amdhsa_memory_ordered 1
		.amdhsa_forward_progress 0
		.amdhsa_round_robin_scheduling 0
		.amdhsa_exception_fp_ieee_invalid_op 0
		.amdhsa_exception_fp_denorm_src 0
		.amdhsa_exception_fp_ieee_div_zero 0
		.amdhsa_exception_fp_ieee_overflow 0
		.amdhsa_exception_fp_ieee_underflow 0
		.amdhsa_exception_fp_ieee_inexact 0
		.amdhsa_exception_int_div_zero 0
	.end_amdhsa_kernel
	.text
.Lfunc_end0:
	.size	fft_rtc_fwd_len1540_factors_11_2_7_5_2_wgs_154_tpt_154_halfLds_dp_ip_CI_unitstride_sbrr_C2R_dirReg, .Lfunc_end0-fft_rtc_fwd_len1540_factors_11_2_7_5_2_wgs_154_tpt_154_halfLds_dp_ip_CI_unitstride_sbrr_C2R_dirReg
                                        ; -- End function
	.section	.AMDGPU.csdata,"",@progbits
; Kernel info:
; codeLenInByte = 10736
; NumSgprs: 38
; NumVgprs: 169
; ScratchSize: 0
; MemoryBound: 0
; FloatMode: 240
; IeeeMode: 1
; LDSByteSize: 0 bytes/workgroup (compile time only)
; SGPRBlocks: 4
; VGPRBlocks: 21
; NumSGPRsForWavesPerEU: 38
; NumVGPRsForWavesPerEU: 169
; Occupancy: 8
; WaveLimiterHint : 1
; COMPUTE_PGM_RSRC2:SCRATCH_EN: 0
; COMPUTE_PGM_RSRC2:USER_SGPR: 2
; COMPUTE_PGM_RSRC2:TRAP_HANDLER: 0
; COMPUTE_PGM_RSRC2:TGID_X_EN: 1
; COMPUTE_PGM_RSRC2:TGID_Y_EN: 0
; COMPUTE_PGM_RSRC2:TGID_Z_EN: 0
; COMPUTE_PGM_RSRC2:TIDIG_COMP_CNT: 0
	.text
	.p2alignl 7, 3214868480
	.fill 96, 4, 3214868480
	.type	__hip_cuid_a68c0d5a99069962,@object ; @__hip_cuid_a68c0d5a99069962
	.section	.bss,"aw",@nobits
	.globl	__hip_cuid_a68c0d5a99069962
__hip_cuid_a68c0d5a99069962:
	.byte	0                               ; 0x0
	.size	__hip_cuid_a68c0d5a99069962, 1

	.ident	"AMD clang version 19.0.0git (https://github.com/RadeonOpenCompute/llvm-project roc-6.4.0 25133 c7fe45cf4b819c5991fe208aaa96edf142730f1d)"
	.section	".note.GNU-stack","",@progbits
	.addrsig
	.addrsig_sym __hip_cuid_a68c0d5a99069962
	.amdgpu_metadata
---
amdhsa.kernels:
  - .args:
      - .actual_access:  read_only
        .address_space:  global
        .offset:         0
        .size:           8
        .value_kind:     global_buffer
      - .offset:         8
        .size:           8
        .value_kind:     by_value
      - .actual_access:  read_only
        .address_space:  global
        .offset:         16
        .size:           8
        .value_kind:     global_buffer
      - .actual_access:  read_only
        .address_space:  global
        .offset:         24
        .size:           8
        .value_kind:     global_buffer
      - .offset:         32
        .size:           8
        .value_kind:     by_value
      - .actual_access:  read_only
        .address_space:  global
        .offset:         40
        .size:           8
        .value_kind:     global_buffer
      - .actual_access:  read_only
        .address_space:  global
        .offset:         48
        .size:           8
        .value_kind:     global_buffer
      - .offset:         56
        .size:           4
        .value_kind:     by_value
      - .actual_access:  read_only
        .address_space:  global
        .offset:         64
        .size:           8
        .value_kind:     global_buffer
      - .actual_access:  read_only
        .address_space:  global
        .offset:         72
        .size:           8
        .value_kind:     global_buffer
      - .address_space:  global
        .offset:         80
        .size:           8
        .value_kind:     global_buffer
    .group_segment_fixed_size: 0
    .kernarg_segment_align: 8
    .kernarg_segment_size: 88
    .language:       OpenCL C
    .language_version:
      - 2
      - 0
    .max_flat_workgroup_size: 154
    .name:           fft_rtc_fwd_len1540_factors_11_2_7_5_2_wgs_154_tpt_154_halfLds_dp_ip_CI_unitstride_sbrr_C2R_dirReg
    .private_segment_fixed_size: 0
    .sgpr_count:     38
    .sgpr_spill_count: 0
    .symbol:         fft_rtc_fwd_len1540_factors_11_2_7_5_2_wgs_154_tpt_154_halfLds_dp_ip_CI_unitstride_sbrr_C2R_dirReg.kd
    .uniform_work_group_size: 1
    .uses_dynamic_stack: false
    .vgpr_count:     169
    .vgpr_spill_count: 0
    .wavefront_size: 32
    .workgroup_processor_mode: 1
amdhsa.target:   amdgcn-amd-amdhsa--gfx1201
amdhsa.version:
  - 1
  - 2
...

	.end_amdgpu_metadata
